;; amdgpu-corpus repo=ROCm/rocFFT kind=compiled arch=gfx1201 opt=O3
	.text
	.amdgcn_target "amdgcn-amd-amdhsa--gfx1201"
	.amdhsa_code_object_version 6
	.protected	fft_rtc_fwd_len1430_factors_13_11_10_wgs_143_tpt_143_half_ip_CI_unitstride_sbrr_C2R_dirReg ; -- Begin function fft_rtc_fwd_len1430_factors_13_11_10_wgs_143_tpt_143_half_ip_CI_unitstride_sbrr_C2R_dirReg
	.globl	fft_rtc_fwd_len1430_factors_13_11_10_wgs_143_tpt_143_half_ip_CI_unitstride_sbrr_C2R_dirReg
	.p2align	8
	.type	fft_rtc_fwd_len1430_factors_13_11_10_wgs_143_tpt_143_half_ip_CI_unitstride_sbrr_C2R_dirReg,@function
fft_rtc_fwd_len1430_factors_13_11_10_wgs_143_tpt_143_half_ip_CI_unitstride_sbrr_C2R_dirReg: ; @fft_rtc_fwd_len1430_factors_13_11_10_wgs_143_tpt_143_half_ip_CI_unitstride_sbrr_C2R_dirReg
; %bb.0:
	s_clause 0x2
	s_load_b128 s[4:7], s[0:1], 0x0
	s_load_b64 s[8:9], s[0:1], 0x50
	s_load_b64 s[10:11], s[0:1], 0x18
	v_mul_u32_u24_e32 v1, 0x1cb, v0
	v_mov_b32_e32 v3, 0
	s_delay_alu instid0(VALU_DEP_2) | instskip(NEXT) | instid1(VALU_DEP_1)
	v_lshrrev_b32_e32 v1, 16, v1
	v_add_nc_u32_e32 v5, ttmp9, v1
	v_mov_b32_e32 v1, 0
	v_mov_b32_e32 v2, 0
	;; [unrolled: 1-line block ×3, first 2 shown]
	s_wait_kmcnt 0x0
	v_cmp_lt_u64_e64 s2, s[6:7], 2
	s_delay_alu instid0(VALU_DEP_1)
	s_and_b32 vcc_lo, exec_lo, s2
	s_cbranch_vccnz .LBB0_8
; %bb.1:
	s_load_b64 s[2:3], s[0:1], 0x10
	v_mov_b32_e32 v1, 0
	v_mov_b32_e32 v2, 0
	s_add_nc_u64 s[12:13], s[10:11], 8
	s_mov_b64 s[14:15], 1
	s_wait_kmcnt 0x0
	s_add_nc_u64 s[16:17], s[2:3], 8
	s_mov_b32 s3, 0
.LBB0_2:                                ; =>This Inner Loop Header: Depth=1
	s_load_b64 s[18:19], s[16:17], 0x0
                                        ; implicit-def: $vgpr7_vgpr8
	s_mov_b32 s2, exec_lo
	s_wait_kmcnt 0x0
	v_or_b32_e32 v4, s19, v6
	s_delay_alu instid0(VALU_DEP_1)
	v_cmpx_ne_u64_e32 0, v[3:4]
	s_wait_alu 0xfffe
	s_xor_b32 s20, exec_lo, s2
	s_cbranch_execz .LBB0_4
; %bb.3:                                ;   in Loop: Header=BB0_2 Depth=1
	s_cvt_f32_u32 s2, s18
	s_cvt_f32_u32 s21, s19
	s_sub_nc_u64 s[24:25], 0, s[18:19]
	s_wait_alu 0xfffe
	s_delay_alu instid0(SALU_CYCLE_1) | instskip(SKIP_1) | instid1(SALU_CYCLE_2)
	s_fmamk_f32 s2, s21, 0x4f800000, s2
	s_wait_alu 0xfffe
	v_s_rcp_f32 s2, s2
	s_delay_alu instid0(TRANS32_DEP_1) | instskip(SKIP_1) | instid1(SALU_CYCLE_2)
	s_mul_f32 s2, s2, 0x5f7ffffc
	s_wait_alu 0xfffe
	s_mul_f32 s21, s2, 0x2f800000
	s_wait_alu 0xfffe
	s_delay_alu instid0(SALU_CYCLE_2) | instskip(SKIP_1) | instid1(SALU_CYCLE_2)
	s_trunc_f32 s21, s21
	s_wait_alu 0xfffe
	s_fmamk_f32 s2, s21, 0xcf800000, s2
	s_cvt_u32_f32 s23, s21
	s_wait_alu 0xfffe
	s_delay_alu instid0(SALU_CYCLE_1) | instskip(SKIP_1) | instid1(SALU_CYCLE_2)
	s_cvt_u32_f32 s22, s2
	s_wait_alu 0xfffe
	s_mul_u64 s[26:27], s[24:25], s[22:23]
	s_wait_alu 0xfffe
	s_mul_hi_u32 s29, s22, s27
	s_mul_i32 s28, s22, s27
	s_mul_hi_u32 s2, s22, s26
	s_mul_i32 s30, s23, s26
	s_wait_alu 0xfffe
	s_add_nc_u64 s[28:29], s[2:3], s[28:29]
	s_mul_hi_u32 s21, s23, s26
	s_mul_hi_u32 s31, s23, s27
	s_add_co_u32 s2, s28, s30
	s_wait_alu 0xfffe
	s_add_co_ci_u32 s2, s29, s21
	s_mul_i32 s26, s23, s27
	s_add_co_ci_u32 s27, s31, 0
	s_wait_alu 0xfffe
	s_add_nc_u64 s[26:27], s[2:3], s[26:27]
	s_wait_alu 0xfffe
	v_add_co_u32 v4, s2, s22, s26
	s_delay_alu instid0(VALU_DEP_1) | instskip(SKIP_1) | instid1(VALU_DEP_1)
	s_cmp_lg_u32 s2, 0
	s_add_co_ci_u32 s23, s23, s27
	v_readfirstlane_b32 s22, v4
	s_wait_alu 0xfffe
	s_delay_alu instid0(VALU_DEP_1)
	s_mul_u64 s[24:25], s[24:25], s[22:23]
	s_wait_alu 0xfffe
	s_mul_hi_u32 s27, s22, s25
	s_mul_i32 s26, s22, s25
	s_mul_hi_u32 s2, s22, s24
	s_mul_i32 s28, s23, s24
	s_wait_alu 0xfffe
	s_add_nc_u64 s[26:27], s[2:3], s[26:27]
	s_mul_hi_u32 s21, s23, s24
	s_mul_hi_u32 s22, s23, s25
	s_wait_alu 0xfffe
	s_add_co_u32 s2, s26, s28
	s_add_co_ci_u32 s2, s27, s21
	s_mul_i32 s24, s23, s25
	s_add_co_ci_u32 s25, s22, 0
	s_wait_alu 0xfffe
	s_add_nc_u64 s[24:25], s[2:3], s[24:25]
	s_wait_alu 0xfffe
	v_add_co_u32 v4, s2, v4, s24
	s_delay_alu instid0(VALU_DEP_1) | instskip(SKIP_1) | instid1(VALU_DEP_1)
	s_cmp_lg_u32 s2, 0
	s_add_co_ci_u32 s2, s23, s25
	v_mul_hi_u32 v13, v5, v4
	s_wait_alu 0xfffe
	v_mad_co_u64_u32 v[7:8], null, v5, s2, 0
	v_mad_co_u64_u32 v[9:10], null, v6, v4, 0
	;; [unrolled: 1-line block ×3, first 2 shown]
	s_delay_alu instid0(VALU_DEP_3) | instskip(SKIP_1) | instid1(VALU_DEP_4)
	v_add_co_u32 v4, vcc_lo, v13, v7
	s_wait_alu 0xfffd
	v_add_co_ci_u32_e32 v7, vcc_lo, 0, v8, vcc_lo
	s_delay_alu instid0(VALU_DEP_2) | instskip(SKIP_1) | instid1(VALU_DEP_2)
	v_add_co_u32 v4, vcc_lo, v4, v9
	s_wait_alu 0xfffd
	v_add_co_ci_u32_e32 v4, vcc_lo, v7, v10, vcc_lo
	s_wait_alu 0xfffd
	v_add_co_ci_u32_e32 v7, vcc_lo, 0, v12, vcc_lo
	s_delay_alu instid0(VALU_DEP_2) | instskip(SKIP_1) | instid1(VALU_DEP_2)
	v_add_co_u32 v4, vcc_lo, v4, v11
	s_wait_alu 0xfffd
	v_add_co_ci_u32_e32 v9, vcc_lo, 0, v7, vcc_lo
	s_delay_alu instid0(VALU_DEP_2) | instskip(SKIP_1) | instid1(VALU_DEP_3)
	v_mul_lo_u32 v10, s19, v4
	v_mad_co_u64_u32 v[7:8], null, s18, v4, 0
	v_mul_lo_u32 v11, s18, v9
	s_delay_alu instid0(VALU_DEP_2) | instskip(NEXT) | instid1(VALU_DEP_2)
	v_sub_co_u32 v7, vcc_lo, v5, v7
	v_add3_u32 v8, v8, v11, v10
	s_delay_alu instid0(VALU_DEP_1) | instskip(SKIP_1) | instid1(VALU_DEP_1)
	v_sub_nc_u32_e32 v10, v6, v8
	s_wait_alu 0xfffd
	v_subrev_co_ci_u32_e64 v10, s2, s19, v10, vcc_lo
	v_add_co_u32 v11, s2, v4, 2
	s_wait_alu 0xf1ff
	v_add_co_ci_u32_e64 v12, s2, 0, v9, s2
	v_sub_co_u32 v13, s2, v7, s18
	v_sub_co_ci_u32_e32 v8, vcc_lo, v6, v8, vcc_lo
	s_wait_alu 0xf1ff
	v_subrev_co_ci_u32_e64 v10, s2, 0, v10, s2
	s_delay_alu instid0(VALU_DEP_3) | instskip(NEXT) | instid1(VALU_DEP_3)
	v_cmp_le_u32_e32 vcc_lo, s18, v13
	v_cmp_eq_u32_e64 s2, s19, v8
	s_wait_alu 0xfffd
	v_cndmask_b32_e64 v13, 0, -1, vcc_lo
	v_cmp_le_u32_e32 vcc_lo, s19, v10
	s_wait_alu 0xfffd
	v_cndmask_b32_e64 v14, 0, -1, vcc_lo
	v_cmp_le_u32_e32 vcc_lo, s18, v7
	;; [unrolled: 3-line block ×3, first 2 shown]
	s_wait_alu 0xfffd
	v_cndmask_b32_e64 v15, 0, -1, vcc_lo
	v_cmp_eq_u32_e32 vcc_lo, s19, v10
	s_wait_alu 0xf1ff
	s_delay_alu instid0(VALU_DEP_2)
	v_cndmask_b32_e64 v7, v15, v7, s2
	s_wait_alu 0xfffd
	v_cndmask_b32_e32 v10, v14, v13, vcc_lo
	v_add_co_u32 v13, vcc_lo, v4, 1
	s_wait_alu 0xfffd
	v_add_co_ci_u32_e32 v14, vcc_lo, 0, v9, vcc_lo
	s_delay_alu instid0(VALU_DEP_3) | instskip(SKIP_2) | instid1(VALU_DEP_3)
	v_cmp_ne_u32_e32 vcc_lo, 0, v10
	s_wait_alu 0xfffd
	v_cndmask_b32_e32 v10, v13, v11, vcc_lo
	v_cndmask_b32_e32 v8, v14, v12, vcc_lo
	v_cmp_ne_u32_e32 vcc_lo, 0, v7
	s_wait_alu 0xfffd
	s_delay_alu instid0(VALU_DEP_2)
	v_dual_cndmask_b32 v7, v4, v10 :: v_dual_cndmask_b32 v8, v9, v8
.LBB0_4:                                ;   in Loop: Header=BB0_2 Depth=1
	s_wait_alu 0xfffe
	s_and_not1_saveexec_b32 s2, s20
	s_cbranch_execz .LBB0_6
; %bb.5:                                ;   in Loop: Header=BB0_2 Depth=1
	v_cvt_f32_u32_e32 v4, s18
	s_sub_co_i32 s20, 0, s18
	s_delay_alu instid0(VALU_DEP_1) | instskip(NEXT) | instid1(TRANS32_DEP_1)
	v_rcp_iflag_f32_e32 v4, v4
	v_mul_f32_e32 v4, 0x4f7ffffe, v4
	s_delay_alu instid0(VALU_DEP_1) | instskip(SKIP_1) | instid1(VALU_DEP_1)
	v_cvt_u32_f32_e32 v4, v4
	s_wait_alu 0xfffe
	v_mul_lo_u32 v7, s20, v4
	s_delay_alu instid0(VALU_DEP_1) | instskip(NEXT) | instid1(VALU_DEP_1)
	v_mul_hi_u32 v7, v4, v7
	v_add_nc_u32_e32 v4, v4, v7
	s_delay_alu instid0(VALU_DEP_1) | instskip(NEXT) | instid1(VALU_DEP_1)
	v_mul_hi_u32 v4, v5, v4
	v_mul_lo_u32 v7, v4, s18
	v_add_nc_u32_e32 v8, 1, v4
	s_delay_alu instid0(VALU_DEP_2) | instskip(NEXT) | instid1(VALU_DEP_1)
	v_sub_nc_u32_e32 v7, v5, v7
	v_subrev_nc_u32_e32 v9, s18, v7
	v_cmp_le_u32_e32 vcc_lo, s18, v7
	s_wait_alu 0xfffd
	s_delay_alu instid0(VALU_DEP_2) | instskip(NEXT) | instid1(VALU_DEP_1)
	v_dual_cndmask_b32 v7, v7, v9 :: v_dual_cndmask_b32 v4, v4, v8
	v_cmp_le_u32_e32 vcc_lo, s18, v7
	s_delay_alu instid0(VALU_DEP_2) | instskip(SKIP_1) | instid1(VALU_DEP_1)
	v_add_nc_u32_e32 v8, 1, v4
	s_wait_alu 0xfffd
	v_dual_cndmask_b32 v7, v4, v8 :: v_dual_mov_b32 v8, v3
.LBB0_6:                                ;   in Loop: Header=BB0_2 Depth=1
	s_wait_alu 0xfffe
	s_or_b32 exec_lo, exec_lo, s2
	s_load_b64 s[20:21], s[12:13], 0x0
	s_delay_alu instid0(VALU_DEP_1)
	v_mul_lo_u32 v4, v8, s18
	v_mul_lo_u32 v11, v7, s19
	v_mad_co_u64_u32 v[9:10], null, v7, s18, 0
	s_add_nc_u64 s[14:15], s[14:15], 1
	s_add_nc_u64 s[12:13], s[12:13], 8
	s_wait_alu 0xfffe
	v_cmp_ge_u64_e64 s2, s[14:15], s[6:7]
	s_add_nc_u64 s[16:17], s[16:17], 8
	s_delay_alu instid0(VALU_DEP_2) | instskip(NEXT) | instid1(VALU_DEP_3)
	v_add3_u32 v4, v10, v11, v4
	v_sub_co_u32 v5, vcc_lo, v5, v9
	s_wait_alu 0xfffd
	s_delay_alu instid0(VALU_DEP_2) | instskip(SKIP_3) | instid1(VALU_DEP_2)
	v_sub_co_ci_u32_e32 v4, vcc_lo, v6, v4, vcc_lo
	s_and_b32 vcc_lo, exec_lo, s2
	s_wait_kmcnt 0x0
	v_mul_lo_u32 v6, s21, v5
	v_mul_lo_u32 v4, s20, v4
	v_mad_co_u64_u32 v[1:2], null, s20, v5, v[1:2]
	s_delay_alu instid0(VALU_DEP_1)
	v_add3_u32 v2, v6, v2, v4
	s_wait_alu 0xfffe
	s_cbranch_vccnz .LBB0_9
; %bb.7:                                ;   in Loop: Header=BB0_2 Depth=1
	v_dual_mov_b32 v5, v7 :: v_dual_mov_b32 v6, v8
	s_branch .LBB0_2
.LBB0_8:
	v_dual_mov_b32 v8, v6 :: v_dual_mov_b32 v7, v5
.LBB0_9:
	s_lshl_b64 s[2:3], s[6:7], 3
	v_mul_hi_u32 v5, 0x1ca4b31, v0
	s_wait_alu 0xfffe
	s_add_nc_u64 s[2:3], s[10:11], s[2:3]
	s_load_b64 s[2:3], s[2:3], 0x0
	s_load_b64 s[0:1], s[0:1], 0x20
	s_wait_kmcnt 0x0
	v_mul_lo_u32 v3, s2, v8
	v_mul_lo_u32 v4, s3, v7
	v_mad_co_u64_u32 v[1:2], null, s2, v7, v[1:2]
	v_cmp_gt_u64_e32 vcc_lo, s[0:1], v[7:8]
	s_delay_alu instid0(VALU_DEP_2) | instskip(SKIP_1) | instid1(VALU_DEP_2)
	v_add3_u32 v2, v4, v2, v3
	v_mul_u32_u24_e32 v4, 0x8f, v5
	v_lshlrev_b64_e32 v[2:3], 2, v[1:2]
	s_delay_alu instid0(VALU_DEP_2)
	v_sub_nc_u32_e32 v0, v0, v4
	s_and_saveexec_b32 s1, vcc_lo
	s_cbranch_execz .LBB0_13
; %bb.10:
	v_mov_b32_e32 v1, 0
	s_delay_alu instid0(VALU_DEP_3) | instskip(SKIP_2) | instid1(VALU_DEP_3)
	v_add_co_u32 v4, s0, s8, v2
	s_wait_alu 0xf1ff
	v_add_co_ci_u32_e64 v5, s0, s9, v3, s0
	v_lshlrev_b64_e32 v[6:7], 2, v[0:1]
	s_mov_b32 s2, exec_lo
	s_delay_alu instid0(VALU_DEP_1) | instskip(SKIP_1) | instid1(VALU_DEP_2)
	v_add_co_u32 v6, s0, v4, v6
	s_wait_alu 0xf1ff
	v_add_co_ci_u32_e64 v7, s0, v5, v7, s0
	s_clause 0x9
	global_load_b32 v8, v[6:7], off
	global_load_b32 v9, v[6:7], off offset:572
	global_load_b32 v10, v[6:7], off offset:1144
	;; [unrolled: 1-line block ×9, first 2 shown]
	v_lshl_add_u32 v7, v0, 2, 0
	s_delay_alu instid0(VALU_DEP_1)
	v_add_nc_u32_e32 v18, 0x800, v7
	v_add_nc_u32_e32 v17, 0x400, v7
	;; [unrolled: 1-line block ×4, first 2 shown]
	s_wait_loadcnt 0x8
	ds_store_2addr_b32 v7, v8, v9 offset1:143
	s_wait_loadcnt 0x6
	ds_store_2addr_b32 v17, v10, v11 offset0:30 offset1:173
	s_wait_loadcnt 0x4
	ds_store_2addr_b32 v18, v12, v13 offset0:60 offset1:203
	;; [unrolled: 2-line block ×4, first 2 shown]
	v_cmpx_eq_u32_e32 0x8e, v0
	s_cbranch_execz .LBB0_12
; %bb.11:
	global_load_b32 v4, v[4:5], off offset:5720
	v_mov_b32_e32 v0, 0x8e
	s_wait_loadcnt 0x0
	ds_store_b32 v1, v4 offset:5720
.LBB0_12:
	s_wait_alu 0xfffe
	s_or_b32 exec_lo, exec_lo, s2
.LBB0_13:
	s_wait_alu 0xfffe
	s_or_b32 exec_lo, exec_lo, s1
	v_lshlrev_b32_e32 v1, 2, v0
	global_wb scope:SCOPE_SE
	s_wait_dscnt 0x0
	s_barrier_signal -1
	s_barrier_wait -1
	global_inv scope:SCOPE_SE
	v_add_nc_u32_e32 v15, 0, v1
	v_sub_nc_u32_e32 v6, 0, v1
	s_mov_b32 s1, exec_lo
                                        ; implicit-def: $vgpr4_vgpr5
	ds_load_u16 v9, v15
	ds_load_u16 v10, v6 offset:5720
	s_wait_dscnt 0x0
	v_add_f16_e32 v8, v10, v9
	v_sub_f16_e32 v7, v9, v10
	v_cmpx_ne_u32_e32 0, v0
	s_wait_alu 0xfffe
	s_xor_b32 s1, exec_lo, s1
	s_cbranch_execz .LBB0_15
; %bb.14:
	v_mov_b32_e32 v1, 0
	v_add_f16_e32 v8, v10, v9
	v_sub_f16_e32 v9, v9, v10
	s_delay_alu instid0(VALU_DEP_3) | instskip(NEXT) | instid1(VALU_DEP_1)
	v_lshlrev_b64_e32 v[4:5], 2, v[0:1]
	v_add_co_u32 v4, s0, s4, v4
	s_wait_alu 0xf1ff
	s_delay_alu instid0(VALU_DEP_2)
	v_add_co_ci_u32_e64 v5, s0, s5, v5, s0
	global_load_b32 v4, v[4:5], off offset:5668
	ds_load_u16 v5, v6 offset:5722
	ds_load_u16 v7, v15 offset:2
	s_wait_dscnt 0x0
	v_add_f16_e32 v10, v5, v7
	v_sub_f16_e32 v5, v7, v5
	s_wait_loadcnt 0x0
	v_lshrrev_b32_e32 v11, 16, v4
	s_delay_alu instid0(VALU_DEP_1) | instskip(NEXT) | instid1(VALU_DEP_3)
	v_fma_f16 v12, -v9, v11, v8
	v_fma_f16 v13, v10, v11, -v5
	v_fma_f16 v7, v10, v11, v5
	v_fma_f16 v8, v9, v11, v8
	s_delay_alu instid0(VALU_DEP_4) | instskip(NEXT) | instid1(VALU_DEP_4)
	v_fmac_f16_e32 v12, v4, v10
	v_fmac_f16_e32 v13, v9, v4
	s_delay_alu instid0(VALU_DEP_4) | instskip(NEXT) | instid1(VALU_DEP_4)
	v_fmac_f16_e32 v7, v9, v4
	v_fma_f16 v8, -v4, v10, v8
	v_dual_mov_b32 v5, v1 :: v_dual_mov_b32 v4, v0
	s_delay_alu instid0(VALU_DEP_4)
	v_pack_b32_f16 v9, v12, v13
	ds_store_b32 v6, v9 offset:5720
.LBB0_15:
	s_wait_alu 0xfffe
	s_and_not1_saveexec_b32 s0, s1
	s_cbranch_execz .LBB0_17
; %bb.16:
	v_mov_b32_e32 v1, 0
	ds_load_b32 v4, v1 offset:2860
	s_wait_dscnt 0x0
	v_pk_mul_f16 v9, 0xc0004000, v4
	v_mov_b32_e32 v4, 0
	v_mov_b32_e32 v5, 0
	ds_store_b32 v1, v9 offset:2860
.LBB0_17:
	s_wait_alu 0xfffe
	s_or_b32 exec_lo, exec_lo, s0
	v_lshlrev_b64_e32 v[4:5], 2, v[4:5]
	s_add_nc_u64 s[0:1], s[4:5], 0x1624
	s_wait_alu 0xfffe
	s_delay_alu instid0(VALU_DEP_1) | instskip(SKIP_1) | instid1(VALU_DEP_2)
	v_add_co_u32 v4, s0, s0, v4
	s_wait_alu 0xf1ff
	v_add_co_ci_u32_e64 v5, s0, s1, v5, s0
	s_mov_b32 s1, exec_lo
	s_clause 0x3
	global_load_b32 v1, v[4:5], off offset:572
	global_load_b32 v9, v[4:5], off offset:1144
	;; [unrolled: 1-line block ×4, first 2 shown]
	v_perm_b32 v5, v7, v8, 0x5040100
	ds_store_b32 v15, v5
	ds_load_b32 v5, v15 offset:572
	ds_load_b32 v7, v6 offset:5148
	s_wait_dscnt 0x1
	v_lshrrev_b32_e32 v8, 16, v5
	s_wait_dscnt 0x0
	v_lshrrev_b32_e32 v11, 16, v7
	v_add_f16_e32 v12, v5, v7
	v_sub_f16_e32 v5, v5, v7
	s_delay_alu instid0(VALU_DEP_3) | instskip(SKIP_3) | instid1(VALU_DEP_1)
	v_add_f16_e32 v7, v11, v8
	v_sub_f16_e32 v8, v8, v11
	s_wait_loadcnt 0x3
	v_lshrrev_b32_e32 v13, 16, v1
	v_fma_f16 v11, v5, v13, v12
	s_delay_alu instid0(VALU_DEP_3) | instskip(SKIP_2) | instid1(VALU_DEP_4)
	v_fma_f16 v14, v7, v13, v8
	v_fma_f16 v12, -v5, v13, v12
	v_fma_f16 v8, v7, v13, -v8
	v_fma_f16 v11, -v1, v7, v11
	s_delay_alu instid0(VALU_DEP_4) | instskip(NEXT) | instid1(VALU_DEP_4)
	v_fmac_f16_e32 v14, v5, v1
	v_fmac_f16_e32 v12, v1, v7
	s_delay_alu instid0(VALU_DEP_4) | instskip(NEXT) | instid1(VALU_DEP_3)
	v_fmac_f16_e32 v8, v5, v1
	v_pack_b32_f16 v1, v11, v14
	s_wait_loadcnt 0x2
	v_lshrrev_b32_e32 v11, 16, v9
	s_delay_alu instid0(VALU_DEP_3)
	v_pack_b32_f16 v5, v12, v8
	ds_store_b32 v15, v1 offset:572
	ds_store_b32 v6, v5 offset:5148
	ds_load_b32 v1, v15 offset:1144
	ds_load_b32 v5, v6 offset:4576
	s_wait_dscnt 0x1
	v_lshrrev_b32_e32 v7, 16, v1
	s_wait_dscnt 0x0
	v_lshrrev_b32_e32 v8, 16, v5
	v_add_f16_e32 v12, v1, v5
	v_sub_f16_e32 v1, v1, v5
	s_delay_alu instid0(VALU_DEP_3) | instskip(SKIP_1) | instid1(VALU_DEP_3)
	v_add_f16_e32 v5, v8, v7
	v_sub_f16_e32 v7, v7, v8
	v_fma_f16 v8, v1, v11, v12
	v_fma_f16 v12, -v1, v11, v12
	s_delay_alu instid0(VALU_DEP_3) | instskip(SKIP_1) | instid1(VALU_DEP_4)
	v_fma_f16 v13, v5, v11, v7
	v_fma_f16 v7, v5, v11, -v7
	v_fma_f16 v8, -v9, v5, v8
	s_delay_alu instid0(VALU_DEP_4) | instskip(NEXT) | instid1(VALU_DEP_4)
	v_fmac_f16_e32 v12, v9, v5
	v_fmac_f16_e32 v13, v1, v9
	s_delay_alu instid0(VALU_DEP_4) | instskip(SKIP_2) | instid1(VALU_DEP_3)
	v_fmac_f16_e32 v7, v1, v9
	s_wait_loadcnt 0x1
	v_lshrrev_b32_e32 v9, 16, v10
	v_pack_b32_f16 v1, v8, v13
	s_delay_alu instid0(VALU_DEP_3)
	v_pack_b32_f16 v5, v12, v7
	ds_store_b32 v15, v1 offset:1144
	ds_store_b32 v6, v5 offset:4576
	ds_load_b32 v1, v15 offset:1716
	ds_load_b32 v5, v6 offset:4004
	s_wait_dscnt 0x1
	v_lshrrev_b32_e32 v7, 16, v1
	s_wait_dscnt 0x0
	v_lshrrev_b32_e32 v8, 16, v5
	v_add_f16_e32 v11, v1, v5
	v_sub_f16_e32 v1, v1, v5
	s_delay_alu instid0(VALU_DEP_3) | instskip(SKIP_1) | instid1(VALU_DEP_3)
	v_add_f16_e32 v5, v8, v7
	v_sub_f16_e32 v7, v7, v8
	v_fma_f16 v8, v1, v9, v11
	v_fma_f16 v11, -v1, v9, v11
	s_delay_alu instid0(VALU_DEP_3) | instskip(SKIP_1) | instid1(VALU_DEP_4)
	v_fma_f16 v12, v5, v9, v7
	v_fma_f16 v7, v5, v9, -v7
	v_fma_f16 v8, -v10, v5, v8
	s_delay_alu instid0(VALU_DEP_4) | instskip(SKIP_4) | instid1(VALU_DEP_2)
	v_fmac_f16_e32 v11, v10, v5
	s_wait_loadcnt 0x0
	v_lshrrev_b32_e32 v9, 16, v4
	v_fmac_f16_e32 v12, v1, v10
	v_fmac_f16_e32 v7, v1, v10
	v_pack_b32_f16 v1, v8, v12
	s_delay_alu instid0(VALU_DEP_2)
	v_pack_b32_f16 v5, v11, v7
	ds_store_b32 v15, v1 offset:1716
	ds_store_b32 v6, v5 offset:4004
	ds_load_b32 v1, v15 offset:2288
	ds_load_b32 v5, v6 offset:3432
	s_wait_dscnt 0x1
	v_lshrrev_b32_e32 v7, 16, v1
	s_wait_dscnt 0x0
	v_lshrrev_b32_e32 v8, 16, v5
	v_add_f16_e32 v10, v1, v5
	v_sub_f16_e32 v1, v1, v5
	s_delay_alu instid0(VALU_DEP_3) | instskip(SKIP_1) | instid1(VALU_DEP_3)
	v_add_f16_e32 v5, v8, v7
	v_sub_f16_e32 v7, v7, v8
	v_fma_f16 v8, v1, v9, v10
	v_fma_f16 v10, -v1, v9, v10
	s_delay_alu instid0(VALU_DEP_3) | instskip(SKIP_1) | instid1(VALU_DEP_4)
	v_fma_f16 v11, v5, v9, v7
	v_fma_f16 v7, v5, v9, -v7
	v_fma_f16 v8, -v4, v5, v8
	s_delay_alu instid0(VALU_DEP_4) | instskip(SKIP_4) | instid1(VALU_DEP_3)
	v_fmac_f16_e32 v10, v4, v5
	v_add_nc_u32_e32 v5, 0x200, v15
	v_fmac_f16_e32 v11, v1, v4
	v_fmac_f16_e32 v7, v1, v4
	v_add_nc_u32_e32 v9, 0x1000, v15
	v_pack_b32_f16 v1, v8, v11
	s_delay_alu instid0(VALU_DEP_3)
	v_pack_b32_f16 v4, v10, v7
	ds_store_b32 v15, v1 offset:2288
	ds_store_b32 v6, v4 offset:3432
	global_wb scope:SCOPE_SE
	s_wait_dscnt 0x0
	s_barrier_signal -1
	s_barrier_wait -1
	global_inv scope:SCOPE_SE
	global_wb scope:SCOPE_SE
	s_barrier_signal -1
	s_barrier_wait -1
	global_inv scope:SCOPE_SE
	ds_load_2addr_b32 v[6:7], v15 offset1:110
	ds_load_b32 v17, v15 offset:5280
	v_add_nc_u32_e32 v8, 0x600, v15
	v_add_nc_u32_e32 v1, 0xc00, v15
	ds_load_2addr_b32 v[19:20], v5 offset0:92 offset1:202
	ds_load_2addr_b32 v[10:11], v9 offset0:76 offset1:186
	v_add_nc_u32_e32 v9, 0xa00, v15
	ds_load_2addr_b32 v[12:13], v8 offset0:56 offset1:166
	ds_load_2addr_b32 v[4:5], v1 offset0:112 offset1:222
	;; [unrolled: 1-line block ×3, first 2 shown]
	global_wb scope:SCOPE_SE
	s_wait_dscnt 0x0
	s_barrier_signal -1
	s_barrier_wait -1
	global_inv scope:SCOPE_SE
	v_pk_add_f16 v14, v6, v7
	v_pk_add_f16 v16, v17, v7
	v_pk_add_f16 v18, v7, v17 neg_lo:[0,1] neg_hi:[0,1]
	v_lshrrev_b32_e32 v1, 16, v6
	v_pk_add_f16 v24, v19, v11 neg_lo:[0,1] neg_hi:[0,1]
	v_pk_add_f16 v7, v14, v19
	v_pk_add_f16 v31, v20, v10 neg_lo:[0,1] neg_hi:[0,1]
	v_pk_add_f16 v33, v12, v5 neg_lo:[0,1] neg_hi:[0,1]
	v_pk_add_f16 v35, v13, v4 neg_lo:[0,1] neg_hi:[0,1]
	v_pk_add_f16 v37, v8, v9 neg_lo:[0,1] neg_hi:[0,1]
	v_pk_add_f16 v7, v7, v20
	v_pk_add_f16 v23, v11, v19
	;; [unrolled: 1-line block ×6, first 2 shown]
	v_lshrrev_b32_e32 v14, 16, v18
	v_lshrrev_b32_e32 v19, 16, v16
	v_pk_mul_f16 v21, 0xbbf1, v18 op_sel_hi:[0,1]
	v_mul_f16_e32 v22, 0xbb7b, v18
	v_mul_f16_e32 v25, 0xb94e, v18
	v_pk_mul_f16 v28, 0xb3a8, v24 op_sel_hi:[0,1]
	v_pk_mul_f16 v48, 0x3b7b, v31 op_sel_hi:[0,1]
	;; [unrolled: 1-line block ×6, first 2 shown]
	v_pk_add_f16 v7, v7, v12
	v_lshrrev_b32_e32 v26, 16, v24
	v_lshrrev_b32_e32 v27, 16, v23
	v_mul_f16_e32 v29, 0x394e, v24
	v_mul_f16_e32 v42, 0x3bf1, v24
	v_pk_mul_f16 v71, 0x3b15, v23 op_sel_hi:[0,1]
	v_mul_f16_e32 v38, 0xb770, v14
	v_mul_f16_e32 v43, 0x3b15, v19
	;; [unrolled: 1-line block ×4, first 2 shown]
	v_pk_fma_f16 v20, 0x2fb7, v16, v21 op_sel:[0,0,1] op_sel_hi:[0,1,0] neg_lo:[0,0,1] neg_hi:[0,0,1]
	v_pk_fma_f16 v21, 0x2fb7, v16, v21 op_sel:[0,0,1] op_sel_hi:[0,1,0]
	v_mul_f16_e32 v76, 0xbb7b, v14
	v_fmamk_f16 v77, v19, 0xb5ac, v22
	v_fma_f16 v22, v19, 0xb5ac, -v22
	v_mul_f16_e32 v14, 0xb94e, v14
	v_fmamk_f16 v78, v19, 0xb9fd, v25
	v_fma_f16 v19, v19, 0xb9fd, -v25
	v_pk_fma_f16 v25, 0xbbc4, v23, v28 op_sel:[0,0,1] op_sel_hi:[0,1,0] neg_lo:[0,0,1] neg_hi:[0,0,1]
	v_pk_fma_f16 v28, 0xbbc4, v23, v28 op_sel:[0,0,1] op_sel_hi:[0,1,0]
	v_pk_fma_f16 v82, 0xb5ac, v30, v48 op_sel:[0,0,1] op_sel_hi:[0,1,0] neg_lo:[0,0,1] neg_hi:[0,0,1]
	v_pk_fma_f16 v83, 0xb5ac, v30, v48 op_sel:[0,0,1] op_sel_hi:[0,1,0]
	v_pk_fma_f16 v90, 0x3b15, v32, v57 op_sel:[0,0,1] op_sel_hi:[0,1,0] neg_lo:[0,0,1] neg_hi:[0,0,1]
	v_pk_fma_f16 v91, 0x3b15, v32, v57 op_sel:[0,0,1] op_sel_hi:[0,1,0]
	v_pk_fma_f16 v98, 0x388b, v34, v62 op_sel:[0,0,1] op_sel_hi:[0,1,0] neg_lo:[0,0,1] neg_hi:[0,0,1]
	v_pk_fma_f16 v62, 0x388b, v34, v62 op_sel:[0,0,1] op_sel_hi:[0,1,0]
	v_pk_fma_f16 v99, 0xb9fd, v36, v67 op_sel:[0,0,1] op_sel_hi:[0,1,0] neg_lo:[0,0,1] neg_hi:[0,0,1]
	v_pk_fma_f16 v67, 0xb9fd, v36, v67 op_sel:[0,0,1] op_sel_hi:[0,1,0]
	v_pk_fma_f16 v100, 0xb3a8, v18, v70 op_sel:[0,0,1] op_sel_hi:[0,1,0]
	v_pk_fma_f16 v70, 0xb3a8, v18, v70 op_sel:[0,0,1] op_sel_hi:[0,1,0] neg_lo:[0,1,0] neg_hi:[0,1,0]
	v_pk_add_f16 v7, v7, v13
	v_lshrrev_b32_e32 v46, 16, v31
	v_lshrrev_b32_e32 v47, 16, v30
	v_mul_f16_e32 v54, 0xba95, v31
	v_pk_mul_f16 v72, 0xb9fd, v30 op_sel_hi:[0,1]
	v_mul_f16_e32 v39, 0xba95, v26
	v_mul_f16_e32 v40, 0x388b, v27
	;; [unrolled: 1-line block ×5, first 2 shown]
	v_fmamk_f16 v80, v27, 0xb9fd, v29
	v_fma_f16 v29, v27, 0xb9fd, -v29
	v_mul_f16_e32 v26, 0x3bf1, v26
	v_fmamk_f16 v81, v27, 0x2fb7, v42
	v_fma_f16 v27, v27, 0x2fb7, -v42
	v_pk_fma_f16 v101, 0x3770, v24, v71 op_sel:[0,0,1] op_sel_hi:[0,1,0]
	v_pk_fma_f16 v71, 0x3770, v24, v71 op_sel:[0,0,1] op_sel_hi:[0,1,0] neg_lo:[0,1,0] neg_hi:[0,1,0]
	v_fma_f16 v12, v16, 0x3b15, -v38
	v_bfi_b32 v112, 0xffff, v21, v20
	v_bfi_b32 v20, 0xffff, v20, v21
	;; [unrolled: 1-line block ×12, first 2 shown]
	v_fmamk_f16 v99, v18, 0xb770, v43
	v_fma_f16 v113, v16, 0x388b, -v49
	v_add_f16_e32 v19, v1, v19
	v_fmamk_f16 v114, v18, 0xba95, v50
	v_fma_f16 v119, v16, 0xb5ac, -v76
	v_fmac_f16_e32 v76, 0xb5ac, v16
	v_fma_f16 v121, v16, 0xb9fd, -v14
	v_fmac_f16_e32 v14, 0xb9fd, v16
	v_add_f16_e32 v123, v1, v70
	v_lshrrev_b32_e32 v70, 16, v70
	v_pk_add_f16 v7, v7, v8
	v_mul_f16_e32 v52, 0x3770, v31
	v_lshrrev_b32_e32 v55, 16, v33
	v_lshrrev_b32_e32 v56, 16, v32
	v_mul_f16_e32 v59, 0x33a8, v33
	v_pk_mul_f16 v73, 0x388b, v32 op_sel_hi:[0,1]
	v_mul_f16_e32 v42, 0xbbf1, v46
	v_mul_f16_e32 v44, 0x2fb7, v47
	;; [unrolled: 1-line block ×6, first 2 shown]
	v_fma_f16 v89, v47, 0x388b, -v54
	v_pk_fma_f16 v106, 0xb94e, v31, v72 op_sel:[0,0,1] op_sel_hi:[0,1,0]
	v_pk_fma_f16 v72, 0xb94e, v31, v72 op_sel:[0,0,1] op_sel_hi:[0,1,0] neg_lo:[0,1,0] neg_hi:[0,1,0]
	v_add_f16_e32 v77, v1, v77
	v_add_f16_e32 v22, v1, v22
	;; [unrolled: 1-line block ×3, first 2 shown]
	v_fma_f16 v115, v23, 0x388b, -v39
	v_pk_add_f16 v100, v6, v100 op_sel:[1,0] op_sel_hi:[0,1]
	v_fmamk_f16 v116, v24, 0xba95, v40
	v_fma_f16 v117, v23, 0xb5ac, -v41
	v_fmamk_f16 v118, v24, 0xbb7b, v51
	v_fma_f16 v120, v23, 0xb9fd, -v79
	v_fmac_f16_e32 v79, 0xb9fd, v23
	v_fma_f16 v122, v23, 0x2fb7, -v26
	v_fmac_f16_e32 v26, 0x2fb7, v23
	v_lshrrev_b32_e32 v124, 16, v71
	v_add_f16_e32 v19, v27, v19
	v_add_f16_e32 v12, v6, v12
	;; [unrolled: 1-line block ×5, first 2 shown]
	v_pk_add_f16 v112, v6, v112
	v_add_f16_e32 v119, v6, v119
	v_add_f16_e32 v76, v6, v76
	v_add_f16_e32 v121, v6, v121
	v_add_f16_e32 v14, v6, v14
	v_pk_add_f16 v20, v6, v20
	v_add_f16_e32 v70, v6, v70
	v_pk_add_f16 v7, v7, v9
	v_mul_f16_e32 v58, 0xbbf1, v33
	v_lshrrev_b32_e32 v61, 16, v35
	v_lshrrev_b32_e32 v60, 16, v34
	v_mul_f16_e32 v63, 0x33a8, v35
	v_mul_f16_e32 v64, 0x3770, v35
	v_pk_mul_f16 v74, 0xb5ac, v34 op_sel_hi:[0,1]
	v_fmamk_f16 v85, v47, 0x3b15, v52
	v_fma_f16 v86, v47, 0x3b15, -v52
	v_fmamk_f16 v88, v47, 0x388b, v54
	v_mul_f16_e32 v46, 0xbb7b, v55
	v_mul_f16_e32 v47, 0xb5ac, v56
	;; [unrolled: 1-line block ×6, first 2 shown]
	v_fma_f16 v97, v56, 0xbbc4, -v59
	v_pk_fma_f16 v109, 0x3a95, v33, v73 op_sel:[0,0,1] op_sel_hi:[0,1,0] neg_lo:[0,1,0] neg_hi:[0,1,0]
	v_fma_f16 v125, v30, 0x2fb7, -v42
	v_fmamk_f16 v126, v31, 0xbbf1, v44
	v_fma_f16 v127, v30, 0xbbc4, -v45
	v_fma_f16 v128, 0xb3a8, v31, v53
	v_fma_f16 v129, v30, 0x3b15, -v84
	v_fmac_f16_e32 v84, 0x3b15, v30
	v_fma_f16 v130, v30, 0x388b, -v87
	v_fmac_f16_e32 v87, 0x388b, v30
	v_lshrrev_b32_e32 v132, 16, v72
	v_add_f16_e32 v77, v80, v77
	v_add_f16_e32 v22, v29, v22
	;; [unrolled: 1-line block ×3, first 2 shown]
	v_pk_add_f16 v100, v101, v100
	v_add_f16_e32 v71, v71, v123
	v_add_f16_e32 v12, v115, v12
	;; [unrolled: 1-line block ×5, first 2 shown]
	v_pk_add_f16 v21, v21, v112
	v_add_f16_e32 v119, v120, v119
	v_add_f16_e32 v8, v79, v76
	;; [unrolled: 1-line block ×5, first 2 shown]
	v_pk_add_f16 v20, v25, v20
	v_add_f16_e32 v70, v124, v70
	v_pk_add_f16 v4, v7, v4
	v_lshrrev_b32_e32 v65, 16, v37
	v_lshrrev_b32_e32 v66, 16, v36
	v_mul_f16_e32 v68, 0x3a95, v37
	v_mul_f16_e32 v69, 0xbb7b, v37
	v_pk_mul_f16 v75, 0x2fb7, v36 op_sel_hi:[0,1]
	v_fmamk_f16 v93, v56, 0x2fb7, v58
	v_fma_f16 v94, v56, 0x2fb7, -v58
	v_fmamk_f16 v96, v56, 0xbbc4, v59
	v_mul_f16_e32 v52, 0xb94e, v61
	v_mul_f16_e32 v55, 0xb9fd, v60
	;; [unrolled: 1-line block ×3, first 2 shown]
	v_fmamk_f16 v102, v60, 0xbbc4, v63
	v_fma_f16 v63, v60, 0xbbc4, -v63
	v_fmamk_f16 v103, v60, 0x3b15, v64
	v_fma_f16 v64, v60, 0x3b15, -v64
	v_mul_f16_e32 v60, 0x2fb7, v60
	v_mul_f16_e32 v104, 0x33a8, v61
	;; [unrolled: 1-line block ×3, first 2 shown]
	v_pk_fma_f16 v73, 0x3a95, v33, v73 op_sel:[0,0,1] op_sel_hi:[0,1,0]
	v_pk_fma_f16 v110, 0xbb7b, v35, v74 op_sel:[0,0,1] op_sel_hi:[0,1,0] neg_lo:[0,1,0] neg_hi:[0,1,0]
	v_fma_f16 v131, v32, 0xb5ac, -v46
	v_fma_f16 v133, 0xbb7b, v33, v47
	v_fma_f16 v134, v32, 0xb9fd, -v48
	v_fma_f16 v135, 0x394e, v33, v54
	v_fma_f16 v136, v32, 0x2fb7, -v92
	v_fmac_f16_e32 v92, 0x2fb7, v32
	v_fma_f16 v137, v32, 0xbbc4, -v95
	v_fmac_f16_e32 v95, 0xbbc4, v32
	v_lshrrev_b32_e32 v117, 16, v109
	v_add_f16_e32 v26, v85, v77
	v_add_f16_e32 v22, v86, v22
	;; [unrolled: 1-line block ×3, first 2 shown]
	v_pk_add_f16 v25, v106, v100
	v_add_f16_e32 v71, v72, v71
	v_add_f16_e32 v9, v125, v12
	;; [unrolled: 1-line block ×4, first 2 shown]
	v_add_f16_e64 v78, v128, v114
	v_pk_add_f16 v21, v28, v21
	v_add_f16_e64 v28, v129, v119
	v_add_f16_e32 v8, v84, v8
	v_add_f16_e64 v76, v130, v76
	v_add_f16_e32 v14, v87, v14
	v_add_f16_e32 v19, v97, v19
	v_pk_add_f16 v20, v82, v20
	v_add_f16_e64 v70, v132, v70
	v_pk_add_f16 v4, v4, v5
	v_mul_f16_e32 v57, 0xb3a8, v65
	v_mul_f16_e32 v58, 0xbbc4, v66
	;; [unrolled: 1-line block ×3, first 2 shown]
	v_fmamk_f16 v107, v66, 0x388b, v68
	v_fma_f16 v68, v66, 0x388b, -v68
	v_fmamk_f16 v108, v66, 0xb5ac, v69
	v_fma_f16 v69, v66, 0xb5ac, -v69
	v_mul_f16_e32 v61, 0x3b15, v66
	v_mul_f16_e32 v66, 0x3a95, v65
	;; [unrolled: 1-line block ×3, first 2 shown]
	v_pk_fma_f16 v74, 0xbb7b, v35, v74 op_sel:[0,0,1] op_sel_hi:[0,1,0]
	v_pk_fma_f16 v111, 0x3bf1, v37, v75 op_sel:[0,0,1] op_sel_hi:[0,1,0] neg_lo:[0,1,0] neg_hi:[0,1,0]
	v_fma_f16 v138, v34, 0xb9fd, -v52
	v_fmamk_f16 v13, v35, 0xb94e, v55
	v_fma_f16 v139, v34, 0x2fb7, -v56
	v_fmamk_f16 v80, v35, 0x3bf1, v60
	v_fma_f16 v29, v34, 0xbbc4, -v104
	v_fmac_f16_e32 v104, 0xbbc4, v34
	v_fma_f16 v81, v34, 0x3b15, -v105
	v_fmac_f16_e32 v105, 0x3b15, v34
	v_lshrrev_b32_e32 v112, 16, v110
	v_add_f16_e32 v26, v93, v26
	v_add_f16_e32 v22, v94, v22
	;; [unrolled: 1-line block ×3, first 2 shown]
	v_pk_add_f16 v25, v73, v25
	v_add_f16_e32 v71, v109, v71
	v_add_f16_e64 v7, v131, v9
	v_add_f16_e64 v9, v133, v12
	;; [unrolled: 1-line block ×4, first 2 shown]
	v_pk_add_f16 v21, v83, v21
	v_add_f16_e64 v28, v136, v28
	v_add_f16_e32 v8, v92, v8
	v_add_f16_e64 v73, v137, v76
	v_add_f16_e32 v14, v95, v14
	v_add_f16_e32 v19, v64, v19
	v_pk_add_f16 v20, v90, v20
	v_add_f16_e32 v64, v117, v70
	v_pk_add_f16 v4, v4, v10
	v_pk_fma_f16 v75, 0x3bf1, v37, v75 op_sel:[0,0,1] op_sel_hi:[0,1,0]
	v_fma_f16 v27, v36, 0xbbc4, -v57
	v_fmamk_f16 v101, v37, 0xb3a8, v58
	v_fma_f16 v123, v36, 0x3b15, -v59
	v_fmamk_f16 v115, v37, 0x3770, v61
	v_fma_f16 v116, v36, 0x388b, -v66
	v_fmac_f16_e32 v66, 0x388b, v36
	v_fma_f16 v118, v36, 0xb5ac, -v65
	v_fmac_f16_e32 v65, 0xb5ac, v36
	v_lshrrev_b32_e32 v120, 16, v111
	v_add_f16_e32 v26, v102, v26
	v_add_f16_e32 v22, v63, v22
	v_add_f16_e32 v63, v103, v77
	v_pk_add_f16 v25, v74, v25
	v_add_f16_e32 v70, v110, v71
	v_add_f16_e64 v5, v138, v7
	v_add_f16_e32 v7, v13, v9
	v_add_f16_e64 v9, v139, v12
	v_add_f16_e32 v12, v80, v72
	v_pk_add_f16 v13, v91, v21
	v_add_f16_e32 v71, v29, v28
	v_add_f16_e32 v8, v104, v8
	;; [unrolled: 1-line block ×4, first 2 shown]
	v_pk_add_f16 v14, v62, v20
	v_add_f16_e32 v62, v112, v64
	v_pk_add_f16 v4, v4, v11
	v_add_f16_e32 v20, v107, v26
	v_add_f16_e32 v21, v68, v22
	;; [unrolled: 1-line block ×4, first 2 shown]
	v_pk_add_f16 v25, v75, v25
	v_add_f16_e32 v29, v111, v70
	v_add_f16_e32 v5, v27, v5
	;; [unrolled: 1-line block ×5, first 2 shown]
	v_pk_add_f16 v10, v98, v14
	v_pk_add_f16 v27, v67, v13
	v_add_f16_e32 v7, v116, v71
	v_add_f16_e32 v14, v66, v8
	;; [unrolled: 1-line block ×5, first 2 shown]
	v_pk_add_f16 v4, v4, v17
	v_cmpx_gt_u32_e32 0x6e, v0
	s_cbranch_execz .LBB0_19
; %bb.18:
	v_mul_f16_e32 v12, 0xba95, v18
	v_mul_f16_e32 v17, 0x3b15, v16
	;; [unrolled: 1-line block ×5, first 2 shown]
	v_sub_f16_e32 v12, v50, v12
	v_mul_f16_e32 v50, 0xbb7b, v24
	v_mul_f16_e32 v24, 0xba95, v24
	;; [unrolled: 1-line block ×3, first 2 shown]
	v_add_f16_e32 v16, v16, v49
	v_sub_f16_e32 v18, v43, v18
	v_add_f16_e32 v17, v17, v38
	v_mul_f16_e32 v63, 0x2fb7, v30
	v_add_f16_e32 v12, v1, v12
	v_sub_f16_e32 v50, v51, v50
	v_mul_f16_e32 v51, 0xb3a8, v31
	v_mul_f16_e32 v31, 0xbbf1, v31
	v_mul_f16_e32 v30, 0xbbc4, v30
	v_add_f16_e32 v16, v6, v16
	v_add_f16_e32 v23, v23, v41
	v_add_f16_e32 v1, v1, v18
	v_sub_f16_e32 v18, v40, v24
	v_add_f16_e32 v6, v6, v17
	v_add_f16_e32 v17, v62, v39
	v_mul_f16_e32 v64, 0xb5ac, v32
	v_add_f16_e32 v12, v50, v12
	v_sub_f16_e32 v50, v53, v51
	v_mul_f16_e32 v51, 0x394e, v33
	v_mul_f16_e32 v33, 0xbb7b, v33
	v_mul_f16_e32 v32, 0xb9fd, v32
	v_add_f16_e32 v16, v23, v16
	v_add_f16_e32 v23, v30, v45
	v_add_f16_e32 v1, v18, v1
	v_sub_f16_e32 v18, v44, v31
	v_add_f16_e32 v6, v17, v6
	;; [unrolled: 12-line block ×4, first 2 shown]
	v_add_f16_e32 v17, v53, v52
	v_add_f16_e32 v12, v50, v12
	v_sub_f16_e32 v37, v61, v37
	v_add_f16_e32 v16, v23, v16
	v_add_f16_e32 v23, v36, v59
	;; [unrolled: 1-line block ×3, first 2 shown]
	v_sub_f16_e32 v18, v58, v51
	v_add_f16_e32 v6, v17, v6
	v_add_f16_e32 v17, v54, v57
	;; [unrolled: 1-line block ×5, first 2 shown]
	v_perm_b32 v18, v26, v5, 0x5040100
	v_add_f16_e32 v6, v17, v6
	v_mad_u32_u24 v17, v0, 48, v15
	v_perm_b32 v23, v28, v9, 0x5040100
	v_perm_b32 v24, v22, v8, 0x5040100
	;; [unrolled: 1-line block ×4, first 2 shown]
	v_alignbit_b32 v32, v29, v25, 16
	v_perm_b32 v33, v21, v14, 0x5040100
	v_perm_b32 v34, v19, v13, 0x5040100
	v_pack_b32_f16 v12, v16, v12
	v_pack_b32_f16 v1, v6, v1
	ds_store_2addr_b32 v17, v4, v18 offset1:1
	ds_store_2addr_b32 v17, v23, v10 offset0:2 offset1:3
	ds_store_2addr_b32 v17, v30, v24 offset0:4 offset1:5
	;; [unrolled: 1-line block ×5, first 2 shown]
	ds_store_b32 v17, v1 offset:48
.LBB0_19:
	s_wait_alu 0xfffe
	s_or_b32 exec_lo, exec_lo, s1
	v_cmp_gt_u32_e64 s0, 0x82, v0
	v_lshrrev_b32_e32 v30, 16, v10
	v_lshrrev_b32_e32 v12, 16, v25
	global_wb scope:SCOPE_SE
	s_wait_dscnt 0x0
	s_barrier_signal -1
	s_barrier_wait -1
	global_inv scope:SCOPE_SE
	s_and_saveexec_b32 s1, s0
	s_cbranch_execz .LBB0_21
; %bb.20:
	v_add_nc_u32_e32 v1, 0x1000, v15
	v_add_nc_u32_e32 v6, 0x400, v15
	;; [unrolled: 1-line block ×3, first 2 shown]
	ds_load_2addr_b32 v[4:5], v15 offset1:130
	ds_load_2addr_b32 v[13:14], v1 offset0:16 offset1:146
	v_add_nc_u32_e32 v1, 0xc00, v15
	ds_load_2addr_b32 v[9:10], v6 offset0:4 offset1:134
	ds_load_2addr_b32 v[7:8], v7 offset0:8 offset1:138
	;; [unrolled: 1-line block ×3, first 2 shown]
	ds_load_b32 v27, v15 offset:5200
	s_wait_dscnt 0x5
	v_lshrrev_b32_e32 v26, 16, v5
	s_wait_dscnt 0x4
	v_lshrrev_b32_e32 v19, 16, v13
	v_lshrrev_b32_e32 v21, 16, v14
	s_wait_dscnt 0x3
	v_lshrrev_b32_e32 v28, 16, v9
	;; [unrolled: 3-line block ×4, first 2 shown]
	v_lshrrev_b32_e32 v29, 16, v12
.LBB0_21:
	s_wait_alu 0xfffe
	s_or_b32 exec_lo, exec_lo, s1
	global_wb scope:SCOPE_SE
	s_wait_dscnt 0x0
	s_barrier_signal -1
	s_barrier_wait -1
	global_inv scope:SCOPE_SE
	s_and_saveexec_b32 s1, s0
	s_cbranch_execz .LBB0_23
; %bb.22:
	v_and_b32_e32 v1, 0xff, v0
	v_lshrrev_b32_e32 v42, 16, v27
	v_lshrrev_b32_e32 v24, 16, v4
	s_delay_alu instid0(VALU_DEP_3) | instskip(NEXT) | instid1(VALU_DEP_1)
	v_mul_lo_u16 v1, 0x4f, v1
	v_lshrrev_b16 v1, 10, v1
	s_delay_alu instid0(VALU_DEP_1) | instskip(SKIP_1) | instid1(VALU_DEP_2)
	v_mul_lo_u16 v6, v1, 13
	v_and_b32_e32 v1, 0xffff, v1
	v_sub_nc_u16 v6, v0, v6
	s_delay_alu instid0(VALU_DEP_2) | instskip(NEXT) | instid1(VALU_DEP_2)
	v_mul_u32_u24_e32 v1, 0x23c, v1
	v_and_b32_e32 v6, 0xff, v6
	s_delay_alu instid0(VALU_DEP_1) | instskip(SKIP_1) | instid1(VALU_DEP_2)
	v_mul_u32_u24_e32 v16, 10, v6
	v_lshlrev_b32_e32 v6, 2, v6
	v_lshlrev_b32_e32 v16, 2, v16
	s_delay_alu instid0(VALU_DEP_2)
	v_add3_u32 v1, 0, v1, v6
	s_clause 0x2
	global_load_b128 v[32:35], v16, s[4:5]
	global_load_b128 v[36:39], v16, s[4:5] offset:16
	global_load_b64 v[40:41], v16, s[4:5] offset:32
	s_wait_loadcnt 0x2
	v_lshrrev_b32_e32 v16, 16, v32
	v_lshrrev_b32_e32 v17, 16, v33
	s_wait_loadcnt 0x0
	v_lshrrev_b32_e32 v31, 16, v41
	v_lshrrev_b32_e32 v18, 16, v34
	;; [unrolled: 1-line block ×8, first 2 shown]
	v_mul_f16_e32 v48, v5, v16
	v_mul_f16_e32 v49, v26, v16
	;; [unrolled: 1-line block ×20, first 2 shown]
	v_fmac_f16_e32 v48, v26, v32
	v_fma_f16 v26, v5, v32, -v49
	v_fma_f16 v5, v27, v41, -v50
	v_fmac_f16_e32 v16, v21, v40
	v_fmac_f16_e32 v51, v28, v33
	v_fma_f16 v21, v9, v33, -v52
	v_fma_f16 v9, v14, v40, -v47
	v_fmac_f16_e32 v17, v19, v39
	v_fma_f16 v14, v10, v34, -v54
	v_fma_f16 v10, v13, v39, -v46
	;; [unrolled: 1-line block ×4, first 2 shown]
	v_fmac_f16_e32 v23, v25, v37
	v_fma_f16 v12, v8, v36, -v43
	v_fma_f16 v8, v11, v37, -v44
	v_sub_f16_e32 v19, v26, v5
	v_add_f16_e32 v33, v26, v5
	v_add_f16_e32 v26, v4, v26
	;; [unrolled: 1-line block ×3, first 2 shown]
	v_fmac_f16_e32 v6, v42, v41
	v_fmac_f16_e32 v53, v30, v34
	;; [unrolled: 1-line block ×4, first 2 shown]
	v_sub_f16_e32 v22, v21, v9
	v_add_f16_e32 v35, v21, v9
	v_add_f16_e32 v21, v26, v21
	;; [unrolled: 1-line block ×3, first 2 shown]
	v_fmac_f16_e32 v18, v29, v38
	v_add_f16_e32 v11, v48, v6
	v_add_f16_e32 v25, v53, v17
	v_sub_f16_e32 v34, v48, v6
	v_sub_f16_e32 v27, v14, v10
	v_add_f16_e32 v39, v14, v10
	v_add_f16_e32 v26, v26, v53
	;; [unrolled: 1-line block ×5, first 2 shown]
	v_sub_f16_e32 v29, v13, v7
	v_add_f16_e32 v30, v31, v23
	v_sub_f16_e32 v32, v12, v8
	v_sub_f16_e32 v36, v51, v16
	v_sub_f16_e32 v38, v53, v17
	v_sub_f16_e32 v40, v55, v18
	v_sub_f16_e32 v42, v31, v23
	v_mul_f16_e32 v44, 0xbbad, v11
	v_mul_f16_e32 v46, 0xb93d, v25
	;; [unrolled: 1-line block ×10, first 2 shown]
	v_add_f16_e32 v41, v13, v7
	v_mul_f16_e32 v75, 0xb853, v19
	v_add_f16_e32 v13, v14, v13
	v_add_f16_e32 v14, v26, v55
	;; [unrolled: 1-line block ×3, first 2 shown]
	v_mul_f16_e32 v45, 0x3abb, v20
	v_mul_f16_e32 v47, 0x36a6, v28
	;; [unrolled: 1-line block ×39, first 2 shown]
	v_fmamk_f16 v90, v19, 0x3482, v44
	v_fmamk_f16 v92, v27, 0x3a0c, v46
	;; [unrolled: 1-line block ×3, first 2 shown]
	v_fmac_f16_e32 v44, 0xb482, v19
	v_fmac_f16_e32 v46, 0xba0c, v27
	v_fma_f16 v19, v33, 0xbbad, -v49
	v_fmamk_f16 v27, v11, 0xb93d, v52
	v_fma_f16 v97, v33, 0xb93d, -v59
	v_fmamk_f16 v99, v11, 0xb08e, v61
	;; [unrolled: 2-line block ×3, first 2 shown]
	v_fma_f16 v109, v33, 0x36a6, -v73
	v_fma_f16 v110, v33, 0x3abb, -v34
	v_fmac_f16_e32 v59, 0xb93d, v33
	v_fmac_f16_e32 v66, 0xb08e, v33
	;; [unrolled: 1-line block ×4, first 2 shown]
	v_fma_f16 v52, v11, 0xb93d, -v52
	v_fma_f16 v61, v11, 0xb08e, -v61
	;; [unrolled: 1-line block ×3, first 2 shown]
	v_fmamk_f16 v112, v11, 0x3abb, v75
	v_add_f16_e32 v12, v13, v12
	v_add_f16_e32 v13, v14, v31
	v_fmamk_f16 v91, v22, 0xb853, v45
	v_fmamk_f16 v93, v29, 0xbb47, v47
	;; [unrolled: 1-line block ×4, first 2 shown]
	v_fmac_f16_e32 v45, 0x3853, v22
	v_fmac_f16_e32 v47, 0x3b47, v29
	;; [unrolled: 1-line block ×3, first 2 shown]
	v_fma_f16 v22, v35, 0x3abb, -v50
	v_fmamk_f16 v29, v20, 0xb08e, v54
	v_fmamk_f16 v32, v25, 0x3abb, v56
	v_fmamk_f16 v49, v28, 0xbbad, v57
	v_fmamk_f16 v50, v30, 0x36a6, v58
	v_fma_f16 v98, v35, 0xb08e, -v60
	v_fmamk_f16 v100, v20, 0xbbad, v62
	v_fmamk_f16 v101, v25, 0x36a6, v63
	v_fmamk_f16 v102, v28, 0x3abb, v64
	v_fmamk_f16 v103, v30, 0xb93d, v65
	;; [unrolled: 5-line block ×3, first 2 shown]
	v_fma_f16 v11, v11, 0x3abb, -v75
	v_fmamk_f16 v75, v20, 0x36a6, v76
	v_fma_f16 v54, v20, 0xb08e, -v54
	v_fma_f16 v62, v20, 0xbbad, -v62
	v_fma_f16 v69, v20, 0xb93d, -v69
	v_fma_f16 v20, v20, 0x36a6, -v76
	v_fmamk_f16 v76, v25, 0xb08e, v77
	v_fma_f16 v56, v25, 0x3abb, -v56
	v_fma_f16 v63, v25, 0x36a6, -v63
	v_fma_f16 v70, v25, 0xbbad, -v70
	;; [unrolled: 5-line block ×4, first 2 shown]
	v_fma_f16 v30, v30, 0xbbad, -v79
	v_fma_f16 v79, v35, 0xb93d, -v74
	v_fmac_f16_e32 v60, 0xb08e, v35
	v_fmac_f16_e32 v67, 0xbbad, v35
	;; [unrolled: 1-line block ×3, first 2 shown]
	v_fma_f16 v113, v35, 0x36a6, -v36
	v_fmac_f16_e32 v36, 0x36a6, v35
	v_fmamk_f16 v21, v39, 0xb93d, v37
	v_fma_f16 v35, v39, 0xb93d, -v37
	v_fma_f16 v37, v39, 0x3abb, -v51
	v_fmac_f16_e32 v51, 0x3abb, v39
	v_fma_f16 v53, v39, 0x36a6, -v80
	v_fmac_f16_e32 v80, 0x36a6, v39
	v_fma_f16 v114, v39, 0xbbad, -v81
	v_fmac_f16_e32 v81, 0xbbad, v39
	v_fma_f16 v115, v39, 0xb08e, -v38
	v_fmac_f16_e32 v38, 0xb08e, v39
	v_fmamk_f16 v39, v41, 0x36a6, v82
	v_fma_f16 v82, v41, 0x36a6, -v82
	v_fma_f16 v116, v41, 0xbbad, -v83
	v_fmac_f16_e32 v83, 0xbbad, v41
	v_fma_f16 v117, v41, 0x3abb, -v84
	v_fmac_f16_e32 v84, 0x3abb, v41
	v_fma_f16 v118, v41, 0xb08e, -v85
	v_fmac_f16_e32 v85, 0xb08e, v41
	;; [unrolled: 10-line block ×3, first 2 shown]
	v_fma_f16 v123, v43, 0xbbad, -v42
	v_fmac_f16_e32 v42, 0xbbad, v43
	v_add_f16_e32 v43, v4, v95
	v_add_f16_e32 v19, v4, v19
	;; [unrolled: 1-line block ×110, first 2 shown]
	v_pack_b32_f16 v16, v29, v28
	v_pack_b32_f16 v23, v27, v26
	;; [unrolled: 1-line block ×11, first 2 shown]
	ds_store_2addr_b32 v1, v16, v23 offset0:26 offset1:39
	ds_store_2addr_b32 v1, v22, v19 offset0:52 offset1:65
	;; [unrolled: 1-line block ×4, first 2 shown]
	ds_store_2addr_b32 v1, v5, v9 offset1:13
	ds_store_b32 v1, v4 offset:520
.LBB0_23:
	s_wait_alu 0xfffe
	s_or_b32 exec_lo, exec_lo, s1
	v_mul_u32_u24_e32 v1, 9, v0
	global_wb scope:SCOPE_SE
	s_wait_dscnt 0x0
	s_barrier_signal -1
	s_barrier_wait -1
	global_inv scope:SCOPE_SE
	v_lshlrev_b32_e32 v1, 2, v1
	v_add_nc_u32_e32 v14, 0xc00, v15
	v_add_nc_u32_e32 v24, 0x1100, v15
	;; [unrolled: 1-line block ×4, first 2 shown]
	s_clause 0x2
	global_load_b128 v[4:7], v1, s[4:5] offset:520
	global_load_b128 v[8:11], v1, s[4:5] offset:536
	global_load_b32 v1, v1, s[4:5] offset:552
	ds_load_2addr_b32 v[12:13], v15 offset1:143
	ds_load_2addr_b32 v[16:17], v14 offset0:90 offset1:233
	ds_load_2addr_b32 v[18:19], v24 offset0:56 offset1:199
	;; [unrolled: 1-line block ×4, first 2 shown]
	global_wb scope:SCOPE_SE
	s_wait_loadcnt_dscnt 0x0
	s_barrier_signal -1
	s_barrier_wait -1
	global_inv scope:SCOPE_SE
	v_lshrrev_b32_e32 v31, 16, v18
	v_lshrrev_b32_e32 v28, 16, v13
	;; [unrolled: 1-line block ×19, first 2 shown]
	v_mul_f16_e32 v46, v37, v28
	v_mul_f16_e32 v37, v37, v13
	;; [unrolled: 1-line block ×18, first 2 shown]
	v_fma_f16 v13, v4, v13, -v46
	v_fmac_f16_e32 v37, v4, v28
	v_fma_f16 v4, v5, v20, -v47
	v_fmac_f16_e32 v38, v5, v33
	;; [unrolled: 2-line block ×9, first 2 shown]
	v_add_f16_e32 v1, v12, v4
	v_add_f16_e32 v16, v6, v8
	v_sub_f16_e32 v17, v38, v44
	v_sub_f16_e32 v19, v4, v6
	;; [unrolled: 1-line block ×3, first 2 shown]
	v_add_f16_e32 v21, v4, v10
	v_add_f16_e32 v28, v27, v38
	;; [unrolled: 1-line block ×3, first 2 shown]
	v_sub_f16_e32 v31, v38, v40
	v_add_f16_e32 v33, v38, v44
	v_sub_f16_e32 v34, v40, v38
	v_add_f16_e32 v36, v13, v5
	v_add_f16_e32 v38, v7, v9
	;; [unrolled: 1-line block ×5, first 2 shown]
	v_sub_f16_e32 v22, v6, v4
	v_sub_f16_e32 v23, v8, v10
	;; [unrolled: 1-line block ×7, first 2 shown]
	v_add_f16_e32 v53, v37, v39
	v_sub_f16_e32 v5, v5, v11
	v_sub_f16_e32 v55, v7, v9
	v_add_f16_e32 v1, v1, v6
	v_fma_f16 v6, -0.5, v16, v12
	v_add_f16_e32 v16, v19, v20
	v_fmac_f16_e32 v12, -0.5, v21
	v_add_f16_e32 v20, v28, v40
	v_fma_f16 v21, -0.5, v29, v27
	v_fmac_f16_e32 v27, -0.5, v33
	v_add_f16_e32 v7, v36, v7
	v_fma_f16 v28, -0.5, v38, v13
	v_fma_f16 v33, -0.5, v54, v37
	v_sub_f16_e32 v47, v41, v43
	v_fmac_f16_e32 v13, -0.5, v50
	v_fmac_f16_e32 v37, -0.5, v58
	v_sub_f16_e32 v35, v42, v44
	v_sub_f16_e32 v49, v11, v9
	;; [unrolled: 1-line block ×7, first 2 shown]
	v_add_f16_e32 v19, v22, v23
	v_add_f16_e32 v22, v31, v32
	;; [unrolled: 1-line block ×4, first 2 shown]
	v_fmamk_f16 v9, v46, 0x3b9c, v28
	v_fmamk_f16 v41, v5, 0xbb9c, v33
	v_sub_f16_e32 v18, v40, v42
	v_add_f16_e32 v20, v20, v42
	v_fmamk_f16 v40, v47, 0xbb9c, v13
	v_fmac_f16_e32 v13, 0x3b9c, v47
	v_fmamk_f16 v42, v55, 0x3b9c, v37
	v_fmac_f16_e32 v37, 0xbb9c, v55
	v_sub_f16_e32 v4, v4, v10
	v_fmac_f16_e32 v28, 0xbb9c, v46
	v_fmac_f16_e32 v33, 0x3b9c, v5
	v_add_f16_e32 v23, v34, v35
	v_add_f16_e32 v29, v48, v49
	;; [unrolled: 1-line block ×5, first 2 shown]
	v_fmamk_f16 v39, v30, 0x3b9c, v27
	v_fmac_f16_e32 v27, 0xbb9c, v30
	v_add_f16_e32 v32, v32, v43
	v_fmac_f16_e32 v9, 0x38b4, v47
	v_fmac_f16_e32 v41, 0xb8b4, v55
	v_add_f16_e32 v31, v51, v52
	v_fmamk_f16 v8, v17, 0x3b9c, v6
	v_fmac_f16_e32 v6, 0xbb9c, v17
	v_fmamk_f16 v36, v18, 0xbb9c, v12
	v_fmac_f16_e32 v12, 0x3b9c, v18
	v_fmac_f16_e32 v40, 0x38b4, v46
	;; [unrolled: 1-line block ×5, first 2 shown]
	v_fmamk_f16 v38, v4, 0xbb9c, v21
	v_fmac_f16_e32 v21, 0x3b9c, v4
	v_fmac_f16_e32 v28, 0xb8b4, v47
	;; [unrolled: 1-line block ×3, first 2 shown]
	v_add_f16_e32 v1, v1, v10
	v_add_f16_e32 v10, v20, v44
	v_fmac_f16_e32 v39, 0xb8b4, v4
	v_fmac_f16_e32 v27, 0x38b4, v4
	v_add_f16_e32 v4, v7, v11
	v_add_f16_e32 v7, v32, v45
	v_fmac_f16_e32 v9, 0x34f2, v29
	v_fmac_f16_e32 v41, 0x34f2, v34
	;; [unrolled: 1-line block ×14, first 2 shown]
	v_add_f16_e32 v5, v1, v4
	v_add_f16_e32 v11, v10, v7
	v_sub_f16_e32 v1, v1, v4
	v_sub_f16_e32 v4, v10, v7
	v_mul_f16_e32 v7, 0x38b4, v41
	v_mul_f16_e32 v18, 0xb8b4, v9
	v_fmac_f16_e32 v8, 0x34f2, v16
	v_fmac_f16_e32 v6, 0x34f2, v16
	;; [unrolled: 1-line block ×4, first 2 shown]
	v_mul_f16_e32 v10, 0x3b9c, v42
	v_mul_f16_e32 v16, 0x34f2, v13
	;; [unrolled: 1-line block ×4, first 2 shown]
	v_fmac_f16_e32 v38, 0x34f2, v22
	v_fmac_f16_e32 v21, 0x34f2, v22
	v_mul_f16_e32 v17, 0x3a79, v28
	v_mul_f16_e32 v22, 0x3a79, v33
	v_fmac_f16_e32 v7, 0x3a79, v9
	v_fmac_f16_e32 v18, 0x3a79, v41
	;; [unrolled: 1-line block ×4, first 2 shown]
	v_pack_b32_f16 v5, v5, v11
	v_pack_b32_f16 v1, v1, v4
	v_fmac_f16_e32 v10, 0x34f2, v40
	v_fma_f16 v4, v37, 0x3b9c, -v16
	v_fmac_f16_e32 v19, 0x34f2, v42
	v_fma_f16 v11, v13, 0xbb9c, -v20
	v_fma_f16 v9, v33, 0x38b4, -v17
	;; [unrolled: 1-line block ×3, first 2 shown]
	v_add_f16_e32 v16, v8, v7
	v_add_f16_e32 v23, v38, v18
	;; [unrolled: 1-line block ×8, first 2 shown]
	v_sub_f16_e32 v7, v8, v7
	v_sub_f16_e32 v8, v36, v10
	;; [unrolled: 1-line block ×8, first 2 shown]
	v_pack_b32_f16 v13, v16, v23
	v_pack_b32_f16 v16, v17, v28
	;; [unrolled: 1-line block ×8, first 2 shown]
	ds_store_2addr_b32 v15, v5, v13 offset1:143
	ds_store_2addr_b32 v25, v16, v17 offset0:30 offset1:173
	ds_store_2addr_b32 v26, v18, v1 offset0:60 offset1:203
	;; [unrolled: 1-line block ×4, first 2 shown]
	global_wb scope:SCOPE_SE
	s_wait_dscnt 0x0
	s_barrier_signal -1
	s_barrier_wait -1
	global_inv scope:SCOPE_SE
	s_and_saveexec_b32 s0, vcc_lo
	s_cbranch_execz .LBB0_25
; %bb.24:
	v_mov_b32_e32 v1, 0
	v_add_co_u32 v30, vcc_lo, s8, v2
	v_add_nc_u32_e32 v2, 0x8f, v0
	s_wait_alu 0xfffd
	v_add_co_ci_u32_e32 v31, vcc_lo, s9, v3, vcc_lo
	v_dual_mov_b32 v3, v1 :: v_dual_add_nc_u32 v8, 0x11e, v0
	v_lshlrev_b64_e32 v[4:5], 2, v[0:1]
	v_lshl_add_u32 v28, v0, 2, 0
	v_mov_b32_e32 v9, v1
	s_delay_alu instid0(VALU_DEP_4)
	v_lshlrev_b64_e32 v[2:3], 2, v[2:3]
	v_dual_mov_b32 v11, v1 :: v_dual_add_nc_u32 v10, 0x1ad, v0
	v_add_co_u32 v4, vcc_lo, v30, v4
	v_add_nc_u32_e32 v12, 0x400, v28
	v_lshlrev_b64_e32 v[8:9], 2, v[8:9]
	v_dual_mov_b32 v15, v1 :: v_dual_add_nc_u32 v14, 0x23c, v0
	s_wait_alu 0xfffd
	v_add_co_ci_u32_e32 v5, vcc_lo, v31, v5, vcc_lo
	v_add_co_u32 v2, vcc_lo, v30, v2
	v_lshlrev_b64_e32 v[10:11], 2, v[10:11]
	v_dual_mov_b32 v19, v1 :: v_dual_add_nc_u32 v16, 0x800, v28
	v_dual_mov_b32 v21, v1 :: v_dual_add_nc_u32 v18, 0x2cb, v0
	s_wait_alu 0xfffd
	v_add_co_ci_u32_e32 v3, vcc_lo, v31, v3, vcc_lo
	v_add_co_u32 v8, vcc_lo, v30, v8
	v_lshlrev_b64_e32 v[14:15], 2, v[14:15]
	v_dual_mov_b32 v23, v1 :: v_dual_add_nc_u32 v20, 0x35a, v0
	s_wait_alu 0xfffd
	v_add_co_ci_u32_e32 v9, vcc_lo, v31, v9, vcc_lo
	ds_load_2addr_b32 v[6:7], v28 offset1:143
	v_add_co_u32 v10, vcc_lo, v30, v10
	v_lshlrev_b64_e32 v[18:19], 2, v[18:19]
	v_dual_mov_b32 v27, v1 :: v_dual_add_nc_u32 v24, 0xc00, v28
	v_add_nc_u32_e32 v22, 0x3e9, v0
	ds_load_2addr_b32 v[12:13], v12 offset0:30 offset1:173
	s_wait_alu 0xfffd
	v_add_co_ci_u32_e32 v11, vcc_lo, v31, v11, vcc_lo
	v_add_co_u32 v14, vcc_lo, v30, v14
	v_lshlrev_b64_e32 v[20:21], 2, v[20:21]
	v_add_nc_u32_e32 v28, 0x1100, v28
	ds_load_2addr_b32 v[16:17], v16 offset0:60 offset1:203
	v_add_nc_u32_e32 v26, 0x478, v0
	s_wait_alu 0xfffd
	v_add_co_ci_u32_e32 v15, vcc_lo, v31, v15, vcc_lo
	v_add_co_u32 v18, vcc_lo, v30, v18
	ds_load_2addr_b32 v[24:25], v24 offset0:90 offset1:233
	v_lshlrev_b64_e32 v[22:23], 2, v[22:23]
	v_add_nc_u32_e32 v0, 0x507, v0
	s_wait_alu 0xfffd
	v_add_co_ci_u32_e32 v19, vcc_lo, v31, v19, vcc_lo
	ds_load_2addr_b32 v[28:29], v28 offset0:56 offset1:199
	v_add_co_u32 v20, vcc_lo, v30, v20
	v_lshlrev_b64_e32 v[26:27], 2, v[26:27]
	s_wait_alu 0xfffd
	v_add_co_ci_u32_e32 v21, vcc_lo, v31, v21, vcc_lo
	v_add_co_u32 v22, vcc_lo, v30, v22
	v_lshlrev_b64_e32 v[0:1], 2, v[0:1]
	s_wait_alu 0xfffd
	v_add_co_ci_u32_e32 v23, vcc_lo, v31, v23, vcc_lo
	v_add_co_u32 v26, vcc_lo, v30, v26
	s_wait_alu 0xfffd
	v_add_co_ci_u32_e32 v27, vcc_lo, v31, v27, vcc_lo
	v_add_co_u32 v0, vcc_lo, v30, v0
	s_wait_alu 0xfffd
	v_add_co_ci_u32_e32 v1, vcc_lo, v31, v1, vcc_lo
	s_wait_dscnt 0x4
	s_clause 0x1
	global_store_b32 v[4:5], v6, off
	global_store_b32 v[2:3], v7, off
	s_wait_dscnt 0x3
	s_clause 0x1
	global_store_b32 v[8:9], v12, off
	global_store_b32 v[10:11], v13, off
	s_wait_dscnt 0x2
	s_clause 0x1
	global_store_b32 v[14:15], v16, off
	global_store_b32 v[18:19], v17, off
	s_wait_dscnt 0x1
	s_clause 0x1
	global_store_b32 v[20:21], v24, off
	global_store_b32 v[22:23], v25, off
	s_wait_dscnt 0x0
	s_clause 0x1
	global_store_b32 v[26:27], v28, off
	global_store_b32 v[0:1], v29, off
.LBB0_25:
	s_nop 0
	s_sendmsg sendmsg(MSG_DEALLOC_VGPRS)
	s_endpgm
	.section	.rodata,"a",@progbits
	.p2align	6, 0x0
	.amdhsa_kernel fft_rtc_fwd_len1430_factors_13_11_10_wgs_143_tpt_143_half_ip_CI_unitstride_sbrr_C2R_dirReg
		.amdhsa_group_segment_fixed_size 0
		.amdhsa_private_segment_fixed_size 0
		.amdhsa_kernarg_size 88
		.amdhsa_user_sgpr_count 2
		.amdhsa_user_sgpr_dispatch_ptr 0
		.amdhsa_user_sgpr_queue_ptr 0
		.amdhsa_user_sgpr_kernarg_segment_ptr 1
		.amdhsa_user_sgpr_dispatch_id 0
		.amdhsa_user_sgpr_private_segment_size 0
		.amdhsa_wavefront_size32 1
		.amdhsa_uses_dynamic_stack 0
		.amdhsa_enable_private_segment 0
		.amdhsa_system_sgpr_workgroup_id_x 1
		.amdhsa_system_sgpr_workgroup_id_y 0
		.amdhsa_system_sgpr_workgroup_id_z 0
		.amdhsa_system_sgpr_workgroup_info 0
		.amdhsa_system_vgpr_workitem_id 0
		.amdhsa_next_free_vgpr 140
		.amdhsa_next_free_sgpr 32
		.amdhsa_reserve_vcc 1
		.amdhsa_float_round_mode_32 0
		.amdhsa_float_round_mode_16_64 0
		.amdhsa_float_denorm_mode_32 3
		.amdhsa_float_denorm_mode_16_64 3
		.amdhsa_fp16_overflow 0
		.amdhsa_workgroup_processor_mode 1
		.amdhsa_memory_ordered 1
		.amdhsa_forward_progress 0
		.amdhsa_round_robin_scheduling 0
		.amdhsa_exception_fp_ieee_invalid_op 0
		.amdhsa_exception_fp_denorm_src 0
		.amdhsa_exception_fp_ieee_div_zero 0
		.amdhsa_exception_fp_ieee_overflow 0
		.amdhsa_exception_fp_ieee_underflow 0
		.amdhsa_exception_fp_ieee_inexact 0
		.amdhsa_exception_int_div_zero 0
	.end_amdhsa_kernel
	.text
.Lfunc_end0:
	.size	fft_rtc_fwd_len1430_factors_13_11_10_wgs_143_tpt_143_half_ip_CI_unitstride_sbrr_C2R_dirReg, .Lfunc_end0-fft_rtc_fwd_len1430_factors_13_11_10_wgs_143_tpt_143_half_ip_CI_unitstride_sbrr_C2R_dirReg
                                        ; -- End function
	.section	.AMDGPU.csdata,"",@progbits
; Kernel info:
; codeLenInByte = 10796
; NumSgprs: 34
; NumVgprs: 140
; ScratchSize: 0
; MemoryBound: 0
; FloatMode: 240
; IeeeMode: 1
; LDSByteSize: 0 bytes/workgroup (compile time only)
; SGPRBlocks: 4
; VGPRBlocks: 17
; NumSGPRsForWavesPerEU: 34
; NumVGPRsForWavesPerEU: 140
; Occupancy: 10
; WaveLimiterHint : 1
; COMPUTE_PGM_RSRC2:SCRATCH_EN: 0
; COMPUTE_PGM_RSRC2:USER_SGPR: 2
; COMPUTE_PGM_RSRC2:TRAP_HANDLER: 0
; COMPUTE_PGM_RSRC2:TGID_X_EN: 1
; COMPUTE_PGM_RSRC2:TGID_Y_EN: 0
; COMPUTE_PGM_RSRC2:TGID_Z_EN: 0
; COMPUTE_PGM_RSRC2:TIDIG_COMP_CNT: 0
	.text
	.p2alignl 7, 3214868480
	.fill 96, 4, 3214868480
	.type	__hip_cuid_ce72dca5b2975963,@object ; @__hip_cuid_ce72dca5b2975963
	.section	.bss,"aw",@nobits
	.globl	__hip_cuid_ce72dca5b2975963
__hip_cuid_ce72dca5b2975963:
	.byte	0                               ; 0x0
	.size	__hip_cuid_ce72dca5b2975963, 1

	.ident	"AMD clang version 19.0.0git (https://github.com/RadeonOpenCompute/llvm-project roc-6.4.0 25133 c7fe45cf4b819c5991fe208aaa96edf142730f1d)"
	.section	".note.GNU-stack","",@progbits
	.addrsig
	.addrsig_sym __hip_cuid_ce72dca5b2975963
	.amdgpu_metadata
---
amdhsa.kernels:
  - .args:
      - .actual_access:  read_only
        .address_space:  global
        .offset:         0
        .size:           8
        .value_kind:     global_buffer
      - .offset:         8
        .size:           8
        .value_kind:     by_value
      - .actual_access:  read_only
        .address_space:  global
        .offset:         16
        .size:           8
        .value_kind:     global_buffer
      - .actual_access:  read_only
        .address_space:  global
        .offset:         24
        .size:           8
        .value_kind:     global_buffer
      - .offset:         32
        .size:           8
        .value_kind:     by_value
      - .actual_access:  read_only
        .address_space:  global
        .offset:         40
        .size:           8
        .value_kind:     global_buffer
      - .actual_access:  read_only
        .address_space:  global
        .offset:         48
        .size:           8
        .value_kind:     global_buffer
      - .offset:         56
        .size:           4
        .value_kind:     by_value
      - .actual_access:  read_only
        .address_space:  global
        .offset:         64
        .size:           8
        .value_kind:     global_buffer
      - .actual_access:  read_only
        .address_space:  global
        .offset:         72
        .size:           8
        .value_kind:     global_buffer
      - .address_space:  global
        .offset:         80
        .size:           8
        .value_kind:     global_buffer
    .group_segment_fixed_size: 0
    .kernarg_segment_align: 8
    .kernarg_segment_size: 88
    .language:       OpenCL C
    .language_version:
      - 2
      - 0
    .max_flat_workgroup_size: 143
    .name:           fft_rtc_fwd_len1430_factors_13_11_10_wgs_143_tpt_143_half_ip_CI_unitstride_sbrr_C2R_dirReg
    .private_segment_fixed_size: 0
    .sgpr_count:     34
    .sgpr_spill_count: 0
    .symbol:         fft_rtc_fwd_len1430_factors_13_11_10_wgs_143_tpt_143_half_ip_CI_unitstride_sbrr_C2R_dirReg.kd
    .uniform_work_group_size: 1
    .uses_dynamic_stack: false
    .vgpr_count:     140
    .vgpr_spill_count: 0
    .wavefront_size: 32
    .workgroup_processor_mode: 1
amdhsa.target:   amdgcn-amd-amdhsa--gfx1201
amdhsa.version:
  - 1
  - 2
...

	.end_amdgpu_metadata
